;; amdgpu-corpus repo=ROCm/rocFFT kind=compiled arch=gfx906 opt=O3
	.text
	.amdgcn_target "amdgcn-amd-amdhsa--gfx906"
	.amdhsa_code_object_version 6
	.protected	fft_rtc_back_len198_factors_11_2_9_wgs_110_tpt_22_dp_op_CI_CI_unitstride_sbrr_R2C_dirReg ; -- Begin function fft_rtc_back_len198_factors_11_2_9_wgs_110_tpt_22_dp_op_CI_CI_unitstride_sbrr_R2C_dirReg
	.globl	fft_rtc_back_len198_factors_11_2_9_wgs_110_tpt_22_dp_op_CI_CI_unitstride_sbrr_R2C_dirReg
	.p2align	8
	.type	fft_rtc_back_len198_factors_11_2_9_wgs_110_tpt_22_dp_op_CI_CI_unitstride_sbrr_R2C_dirReg,@function
fft_rtc_back_len198_factors_11_2_9_wgs_110_tpt_22_dp_op_CI_CI_unitstride_sbrr_R2C_dirReg: ; @fft_rtc_back_len198_factors_11_2_9_wgs_110_tpt_22_dp_op_CI_CI_unitstride_sbrr_R2C_dirReg
; %bb.0:
	s_load_dwordx4 s[8:11], s[4:5], 0x58
	s_load_dwordx4 s[12:15], s[4:5], 0x0
	;; [unrolled: 1-line block ×3, first 2 shown]
	v_mul_u32_u24_e32 v1, 0xba3, v0
	v_lshrrev_b32_e32 v1, 16, v1
	v_mad_u64_u32 v[3:4], s[0:1], s6, 5, v[1:2]
	v_mov_b32_e32 v5, 0
	v_mov_b32_e32 v1, 0
	;; [unrolled: 1-line block ×3, first 2 shown]
	s_waitcnt lgkmcnt(0)
	v_cmp_lt_u64_e64 s[0:1], s[14:15], 2
	v_mov_b32_e32 v2, 0
	v_mov_b32_e32 v53, v2
	;; [unrolled: 1-line block ×3, first 2 shown]
	s_and_b64 vcc, exec, s[0:1]
	v_mov_b32_e32 v52, v1
	v_mov_b32_e32 v54, v3
	s_cbranch_vccnz .LBB0_8
; %bb.1:
	s_load_dwordx2 s[0:1], s[4:5], 0x10
	s_add_u32 s2, s18, 8
	s_addc_u32 s3, s19, 0
	s_add_u32 s6, s16, 8
	v_mov_b32_e32 v1, 0
	s_addc_u32 s7, s17, 0
	v_mov_b32_e32 v2, 0
	s_waitcnt lgkmcnt(0)
	s_add_u32 s20, s0, 8
	v_mov_b32_e32 v53, v2
	v_mov_b32_e32 v8, v4
	s_addc_u32 s21, s1, 0
	s_mov_b64 s[22:23], 1
	v_mov_b32_e32 v52, v1
	v_mov_b32_e32 v7, v3
.LBB0_2:                                ; =>This Inner Loop Header: Depth=1
	s_load_dwordx2 s[24:25], s[20:21], 0x0
                                        ; implicit-def: $vgpr54_vgpr55
	s_waitcnt lgkmcnt(0)
	v_or_b32_e32 v6, s25, v8
	v_cmp_ne_u64_e32 vcc, 0, v[5:6]
	s_and_saveexec_b64 s[0:1], vcc
	s_xor_b64 s[26:27], exec, s[0:1]
	s_cbranch_execz .LBB0_4
; %bb.3:                                ;   in Loop: Header=BB0_2 Depth=1
	v_cvt_f32_u32_e32 v4, s24
	v_cvt_f32_u32_e32 v6, s25
	s_sub_u32 s0, 0, s24
	s_subb_u32 s1, 0, s25
	v_mac_f32_e32 v4, 0x4f800000, v6
	v_rcp_f32_e32 v4, v4
	v_mul_f32_e32 v4, 0x5f7ffffc, v4
	v_mul_f32_e32 v6, 0x2f800000, v4
	v_trunc_f32_e32 v6, v6
	v_mac_f32_e32 v4, 0xcf800000, v6
	v_cvt_u32_f32_e32 v6, v6
	v_cvt_u32_f32_e32 v4, v4
	v_mul_lo_u32 v9, s0, v6
	v_mul_hi_u32 v10, s0, v4
	v_mul_lo_u32 v12, s1, v4
	v_mul_lo_u32 v11, s0, v4
	v_add_u32_e32 v9, v10, v9
	v_add_u32_e32 v9, v9, v12
	v_mul_hi_u32 v10, v4, v11
	v_mul_lo_u32 v12, v4, v9
	v_mul_hi_u32 v14, v4, v9
	v_mul_hi_u32 v13, v6, v11
	v_mul_lo_u32 v11, v6, v11
	v_mul_hi_u32 v15, v6, v9
	v_add_co_u32_e32 v10, vcc, v10, v12
	v_addc_co_u32_e32 v12, vcc, 0, v14, vcc
	v_mul_lo_u32 v9, v6, v9
	v_add_co_u32_e32 v10, vcc, v10, v11
	v_addc_co_u32_e32 v10, vcc, v12, v13, vcc
	v_addc_co_u32_e32 v11, vcc, 0, v15, vcc
	v_add_co_u32_e32 v9, vcc, v10, v9
	v_addc_co_u32_e32 v10, vcc, 0, v11, vcc
	v_add_co_u32_e32 v4, vcc, v4, v9
	v_addc_co_u32_e32 v6, vcc, v6, v10, vcc
	v_mul_lo_u32 v9, s0, v6
	v_mul_hi_u32 v10, s0, v4
	v_mul_lo_u32 v11, s1, v4
	v_mul_lo_u32 v12, s0, v4
	v_add_u32_e32 v9, v10, v9
	v_add_u32_e32 v9, v9, v11
	v_mul_lo_u32 v13, v4, v9
	v_mul_hi_u32 v14, v4, v12
	v_mul_hi_u32 v15, v4, v9
	;; [unrolled: 1-line block ×3, first 2 shown]
	v_mul_lo_u32 v12, v6, v12
	v_mul_hi_u32 v10, v6, v9
	v_add_co_u32_e32 v13, vcc, v14, v13
	v_addc_co_u32_e32 v14, vcc, 0, v15, vcc
	v_mul_lo_u32 v9, v6, v9
	v_add_co_u32_e32 v12, vcc, v13, v12
	v_addc_co_u32_e32 v11, vcc, v14, v11, vcc
	v_addc_co_u32_e32 v10, vcc, 0, v10, vcc
	v_add_co_u32_e32 v9, vcc, v11, v9
	v_addc_co_u32_e32 v10, vcc, 0, v10, vcc
	v_add_co_u32_e32 v4, vcc, v4, v9
	v_addc_co_u32_e32 v6, vcc, v6, v10, vcc
	v_mad_u64_u32 v[9:10], s[0:1], v7, v6, 0
	v_mul_hi_u32 v11, v7, v4
	v_add_co_u32_e32 v13, vcc, v11, v9
	v_addc_co_u32_e32 v14, vcc, 0, v10, vcc
	v_mad_u64_u32 v[9:10], s[0:1], v8, v4, 0
	v_mad_u64_u32 v[11:12], s[0:1], v8, v6, 0
	v_add_co_u32_e32 v4, vcc, v13, v9
	v_addc_co_u32_e32 v4, vcc, v14, v10, vcc
	v_addc_co_u32_e32 v6, vcc, 0, v12, vcc
	v_add_co_u32_e32 v4, vcc, v4, v11
	v_addc_co_u32_e32 v6, vcc, 0, v6, vcc
	v_mul_lo_u32 v11, s25, v4
	v_mul_lo_u32 v12, s24, v6
	v_mad_u64_u32 v[9:10], s[0:1], s24, v4, 0
	v_add3_u32 v10, v10, v12, v11
	v_sub_u32_e32 v11, v8, v10
	v_mov_b32_e32 v12, s25
	v_sub_co_u32_e32 v9, vcc, v7, v9
	v_subb_co_u32_e64 v11, s[0:1], v11, v12, vcc
	v_subrev_co_u32_e64 v12, s[0:1], s24, v9
	v_subbrev_co_u32_e64 v11, s[0:1], 0, v11, s[0:1]
	v_cmp_le_u32_e64 s[0:1], s25, v11
	v_cndmask_b32_e64 v13, 0, -1, s[0:1]
	v_cmp_le_u32_e64 s[0:1], s24, v12
	v_cndmask_b32_e64 v12, 0, -1, s[0:1]
	v_cmp_eq_u32_e64 s[0:1], s25, v11
	v_cndmask_b32_e64 v11, v13, v12, s[0:1]
	v_add_co_u32_e64 v12, s[0:1], 2, v4
	v_addc_co_u32_e64 v13, s[0:1], 0, v6, s[0:1]
	v_add_co_u32_e64 v14, s[0:1], 1, v4
	v_addc_co_u32_e64 v15, s[0:1], 0, v6, s[0:1]
	v_subb_co_u32_e32 v10, vcc, v8, v10, vcc
	v_cmp_ne_u32_e64 s[0:1], 0, v11
	v_cmp_le_u32_e32 vcc, s25, v10
	v_cndmask_b32_e64 v11, v15, v13, s[0:1]
	v_cndmask_b32_e64 v13, 0, -1, vcc
	v_cmp_le_u32_e32 vcc, s24, v9
	v_cndmask_b32_e64 v9, 0, -1, vcc
	v_cmp_eq_u32_e32 vcc, s25, v10
	v_cndmask_b32_e32 v9, v13, v9, vcc
	v_cmp_ne_u32_e32 vcc, 0, v9
	v_cndmask_b32_e32 v55, v6, v11, vcc
	v_cndmask_b32_e64 v6, v14, v12, s[0:1]
	v_cndmask_b32_e32 v54, v4, v6, vcc
.LBB0_4:                                ;   in Loop: Header=BB0_2 Depth=1
	s_andn2_saveexec_b64 s[0:1], s[26:27]
	s_cbranch_execz .LBB0_6
; %bb.5:                                ;   in Loop: Header=BB0_2 Depth=1
	v_cvt_f32_u32_e32 v4, s24
	s_sub_i32 s26, 0, s24
	v_mov_b32_e32 v55, v5
	v_rcp_iflag_f32_e32 v4, v4
	v_mul_f32_e32 v4, 0x4f7ffffe, v4
	v_cvt_u32_f32_e32 v4, v4
	v_mul_lo_u32 v6, s26, v4
	v_mul_hi_u32 v6, v4, v6
	v_add_u32_e32 v4, v4, v6
	v_mul_hi_u32 v4, v7, v4
	v_mul_lo_u32 v6, v4, s24
	v_add_u32_e32 v9, 1, v4
	v_sub_u32_e32 v6, v7, v6
	v_subrev_u32_e32 v10, s24, v6
	v_cmp_le_u32_e32 vcc, s24, v6
	v_cndmask_b32_e32 v6, v6, v10, vcc
	v_cndmask_b32_e32 v4, v4, v9, vcc
	v_add_u32_e32 v9, 1, v4
	v_cmp_le_u32_e32 vcc, s24, v6
	v_cndmask_b32_e32 v54, v4, v9, vcc
.LBB0_6:                                ;   in Loop: Header=BB0_2 Depth=1
	s_or_b64 exec, exec, s[0:1]
	v_mul_lo_u32 v4, v55, s24
	v_mul_lo_u32 v6, v54, s25
	v_mad_u64_u32 v[9:10], s[0:1], v54, s24, 0
	s_load_dwordx2 s[0:1], s[6:7], 0x0
	s_load_dwordx2 s[24:25], s[2:3], 0x0
	v_add3_u32 v4, v10, v6, v4
	v_sub_co_u32_e32 v6, vcc, v7, v9
	v_subb_co_u32_e32 v4, vcc, v8, v4, vcc
	s_waitcnt lgkmcnt(0)
	v_mul_lo_u32 v7, s0, v4
	v_mul_lo_u32 v8, s1, v6
	v_mad_u64_u32 v[1:2], s[0:1], s0, v6, v[1:2]
	s_add_u32 s22, s22, 1
	s_addc_u32 s23, s23, 0
	s_add_u32 s2, s2, 8
	v_mul_lo_u32 v4, s24, v4
	v_mul_lo_u32 v9, s25, v6
	v_mad_u64_u32 v[52:53], s[0:1], s24, v6, v[52:53]
	v_add3_u32 v2, v8, v2, v7
	s_addc_u32 s3, s3, 0
	v_mov_b32_e32 v6, s14
	s_add_u32 s6, s6, 8
	v_mov_b32_e32 v7, s15
	s_addc_u32 s7, s7, 0
	v_cmp_ge_u64_e32 vcc, s[22:23], v[6:7]
	s_add_u32 s20, s20, 8
	v_add3_u32 v53, v9, v53, v4
	s_addc_u32 s21, s21, 0
	s_cbranch_vccnz .LBB0_8
; %bb.7:                                ;   in Loop: Header=BB0_2 Depth=1
	v_mov_b32_e32 v7, v54
	v_mov_b32_e32 v8, v55
	s_branch .LBB0_2
.LBB0_8:
	s_mov_b32 s2, 0xcccccccd
	s_load_dwordx2 s[0:1], s[4:5], 0x28
	v_mul_hi_u32 v4, v3, s2
	s_lshl_b64 s[6:7], s[14:15], 3
	s_add_u32 s4, s18, s6
	s_addc_u32 s5, s19, s7
	v_lshrrev_b32_e32 v4, 2, v4
	v_lshl_add_u32 v4, v4, 2, v4
	s_waitcnt lgkmcnt(0)
	v_cmp_gt_u64_e32 vcc, s[0:1], v[54:55]
	v_cmp_le_u64_e64 s[0:1], s[0:1], v[54:55]
	v_sub_u32_e32 v3, v3, v4
                                        ; implicit-def: $vgpr56
	s_and_saveexec_b64 s[2:3], s[0:1]
	s_xor_b64 s[0:1], exec, s[2:3]
; %bb.9:
	s_mov_b32 s2, 0xba2e8bb
	v_mul_hi_u32 v1, v0, s2
	v_mul_u32_u24_e32 v1, 22, v1
	v_sub_u32_e32 v56, v0, v1
                                        ; implicit-def: $vgpr0
                                        ; implicit-def: $vgpr1_vgpr2
; %bb.10:
	s_or_saveexec_b64 s[2:3], s[0:1]
	v_mul_u32_u24_e32 v3, 0xc7, v3
	v_lshlrev_b32_e32 v141, 4, v3
	s_xor_b64 exec, exec, s[2:3]
	s_cbranch_execz .LBB0_12
; %bb.11:
	s_add_u32 s0, s16, s6
	s_addc_u32 s1, s17, s7
	s_load_dwordx2 s[0:1], s[0:1], 0x0
	s_mov_b32 s6, 0xba2e8bb
	v_mul_hi_u32 v5, v0, s6
	s_waitcnt lgkmcnt(0)
	v_mul_lo_u32 v6, s1, v54
	v_mul_lo_u32 v7, s0, v55
	v_mad_u64_u32 v[3:4], s[0:1], s0, v54, 0
	v_mul_u32_u24_e32 v5, 22, v5
	v_sub_u32_e32 v56, v0, v5
	v_add3_u32 v4, v4, v7, v6
	v_lshlrev_b64 v[3:4], 4, v[3:4]
	v_mov_b32_e32 v0, s9
	v_add_co_u32_e64 v3, s[0:1], s8, v3
	v_addc_co_u32_e64 v4, s[0:1], v0, v4, s[0:1]
	v_lshlrev_b64 v[0:1], 4, v[1:2]
	v_lshlrev_b32_e32 v38, 4, v56
	v_add_co_u32_e64 v0, s[0:1], v3, v0
	v_addc_co_u32_e64 v1, s[0:1], v4, v1, s[0:1]
	v_add_co_u32_e64 v36, s[0:1], v0, v38
	v_addc_co_u32_e64 v37, s[0:1], 0, v1, s[0:1]
	global_load_dwordx4 v[0:3], v[36:37], off
	global_load_dwordx4 v[4:7], v[36:37], off offset:352
	global_load_dwordx4 v[8:11], v[36:37], off offset:704
	;; [unrolled: 1-line block ×8, first 2 shown]
	v_add3_u32 v36, 0, v141, v38
	s_waitcnt vmcnt(8)
	ds_write_b128 v36, v[0:3]
	s_waitcnt vmcnt(7)
	ds_write_b128 v36, v[4:7] offset:352
	s_waitcnt vmcnt(6)
	ds_write_b128 v36, v[8:11] offset:704
	;; [unrolled: 2-line block ×8, first 2 shown]
.LBB0_12:
	s_or_b64 exec, exec, s[2:3]
	v_lshlrev_b32_e32 v139, 4, v56
	v_add_u32_e32 v142, 0, v139
	v_add_u32_e32 v140, v142, v141
	s_waitcnt lgkmcnt(0)
	s_barrier
	ds_read_b128 v[8:11], v140 offset:2880
	ds_read_b128 v[12:15], v140 offset:288
	v_add_u32_e32 v137, 0, v141
	v_add_u32_e32 v138, v137, v139
	ds_read_b128 v[20:23], v138
	ds_read_b128 v[28:31], v140 offset:576
	s_waitcnt lgkmcnt(2)
	v_add_f64 v[61:62], v[14:15], -v[10:11]
	ds_read_b128 v[16:19], v140 offset:2592
	s_mov_b32 s6, 0x8eee2c13
	s_mov_b32 s7, 0xbfed1bb4
	v_add_f64 v[57:58], v[12:13], v[8:9]
	v_add_f64 v[59:60], v[14:15], v[10:11]
	s_waitcnt lgkmcnt(0)
	v_add_f64 v[67:68], v[30:31], -v[18:19]
	ds_read_b128 v[32:35], v140 offset:864
	ds_read_b128 v[24:27], v140 offset:2304
	v_mul_f64 v[81:82], v[61:62], s[6:7]
	s_mov_b32 s2, 0xd9c712b6
	s_mov_b32 s14, 0xbb3a28a1
	;; [unrolled: 1-line block ×8, first 2 shown]
	v_add_f64 v[85:86], v[12:13], -v[8:9]
	v_mul_f64 v[99:100], v[59:60], s[2:3]
	v_fma_f64 v[0:1], v[57:58], s[2:3], -v[81:82]
	v_add_f64 v[65:66], v[30:31], v[18:19]
	v_add_f64 v[63:64], v[28:29], v[16:17]
	v_mul_f64 v[87:88], v[67:68], s[14:15]
	s_waitcnt lgkmcnt(0)
	v_add_f64 v[71:72], v[34:35], -v[26:27]
	v_mul_f64 v[117:118], v[61:62], s[22:23]
	v_mul_f64 v[127:128], v[59:60], s[24:25]
	s_mov_b32 s8, 0x7f775887
	s_mov_b32 s16, 0x9bcd5057
	;; [unrolled: 1-line block ×6, first 2 shown]
	v_fma_f64 v[2:3], v[85:86], s[6:7], v[99:100]
	v_add_f64 v[75:76], v[28:29], -v[16:17]
	v_mul_f64 v[101:102], v[65:66], s[8:9]
	v_add_f64 v[0:1], v[20:21], v[0:1]
	v_fma_f64 v[4:5], v[63:64], s[8:9], -v[87:88]
	v_add_f64 v[69:70], v[32:33], v[24:25]
	v_mul_f64 v[77:78], v[71:72], s[18:19]
	v_add_f64 v[73:74], v[34:35], v[26:27]
	v_fma_f64 v[97:98], v[57:58], s[24:25], -v[117:118]
	v_mul_f64 v[123:124], v[67:68], s[18:19]
	v_fma_f64 v[107:108], v[85:86], s[22:23], v[127:128]
	v_mul_f64 v[133:134], v[65:66], s[16:17]
	ds_read_b128 v[36:39], v140 offset:2016
	ds_read_b128 v[40:43], v140 offset:1152
	s_mov_b32 s35, 0x3fed1bb4
	s_mov_b32 s34, s6
	v_add_f64 v[2:3], v[22:23], v[2:3]
	v_fma_f64 v[6:7], v[75:76], s[14:15], v[101:102]
	v_add_f64 v[0:1], v[4:5], v[0:1]
	v_fma_f64 v[4:5], v[69:70], s[16:17], -v[77:78]
	s_waitcnt lgkmcnt(0)
	v_add_f64 v[89:90], v[42:43], -v[38:39]
	v_add_f64 v[93:94], v[32:33], -v[24:25]
	v_mul_f64 v[111:112], v[73:74], s[16:17]
	v_add_f64 v[83:84], v[42:43], v[38:39]
	v_add_f64 v[109:110], v[20:21], v[97:98]
	v_fma_f64 v[115:116], v[63:64], s[16:17], -v[123:124]
	v_add_f64 v[119:120], v[22:23], v[107:108]
	v_fma_f64 v[125:126], v[75:76], s[18:19], v[133:134]
	v_mul_f64 v[121:122], v[71:72], s[34:35]
	v_mul_f64 v[129:130], v[73:74], s[2:3]
	ds_read_b128 v[44:47], v140 offset:1440
	ds_read_b128 v[48:51], v140 offset:1728
	s_mov_b32 s26, 0xf8bb580b
	s_mov_b32 s28, 0x8764f0ba
	s_mov_b32 s31, 0x3fefac9e
	s_mov_b32 s30, s22
	s_mov_b32 s27, 0xbfe14ced
	s_mov_b32 s29, 0x3feaeb8c
	v_add_f64 v[2:3], v[6:7], v[2:3]
	v_add_f64 v[79:80], v[40:41], v[36:37]
	v_mul_f64 v[95:96], v[89:90], s[30:31]
	v_add_f64 v[0:1], v[4:5], v[0:1]
	v_fma_f64 v[4:5], v[93:94], s[18:19], v[111:112]
	s_waitcnt lgkmcnt(0)
	v_add_f64 v[103:104], v[46:47], -v[50:51]
	v_add_f64 v[105:106], v[40:41], -v[36:37]
	v_mul_f64 v[113:114], v[83:84], s[24:25]
	v_add_f64 v[97:98], v[46:47], v[50:51]
	v_add_f64 v[131:132], v[115:116], v[109:110]
	;; [unrolled: 1-line block ×3, first 2 shown]
	v_fma_f64 v[143:144], v[69:70], s[2:3], -v[121:122]
	v_fma_f64 v[145:146], v[93:94], s[34:35], v[129:130]
	v_mul_f64 v[125:126], v[89:90], s[26:27]
	v_mul_f64 v[135:136], v[83:84], s[28:29]
	s_mov_b32 s37, 0x3fe14ced
	s_mov_b32 s36, s26
	v_fma_f64 v[6:7], v[79:80], s[24:25], -v[95:96]
	v_add_f64 v[91:92], v[44:45], v[48:49]
	v_mul_f64 v[107:108], v[103:104], s[36:37]
	v_add_f64 v[2:3], v[4:5], v[2:3]
	v_fma_f64 v[4:5], v[105:106], s[30:31], v[113:114]
	v_add_f64 v[109:110], v[44:45], -v[48:49]
	v_mul_f64 v[115:116], v[97:98], s[28:29]
	v_add_f64 v[143:144], v[143:144], v[131:132]
	v_add_f64 v[145:146], v[145:146], v[119:120]
	v_fma_f64 v[147:148], v[79:80], s[28:29], -v[125:126]
	v_fma_f64 v[149:150], v[105:106], s[26:27], v[135:136]
	v_mul_f64 v[119:120], v[103:104], s[14:15]
	v_mul_f64 v[131:132], v[97:98], s[8:9]
	v_add_f64 v[0:1], v[6:7], v[0:1]
	v_fma_f64 v[6:7], v[91:92], s[28:29], -v[107:108]
	v_add_f64 v[2:3], v[4:5], v[2:3]
	v_fma_f64 v[151:152], v[109:110], s[36:37], v[115:116]
	v_add_f64 v[143:144], v[147:148], v[143:144]
	v_add_f64 v[145:146], v[149:150], v[145:146]
	v_fma_f64 v[147:148], v[91:92], s[8:9], -v[119:120]
	v_fma_f64 v[149:150], v[109:110], s[14:15], v[131:132]
	v_cmp_gt_u32_e64 s[0:1], 18, v56
	v_add_f64 v[4:5], v[6:7], v[0:1]
	v_add_f64 v[6:7], v[151:152], v[2:3]
	s_barrier
	v_add_f64 v[0:1], v[147:148], v[143:144]
	v_add_f64 v[2:3], v[149:150], v[145:146]
	s_and_saveexec_b64 s[20:21], s[0:1]
	s_cbranch_execz .LBB0_14
; %bb.13:
	v_mul_f64 v[165:166], v[75:76], s[18:19]
	v_mul_f64 v[167:168], v[93:94], s[18:19]
	s_mov_b32 s19, 0xbfd207e7
	v_mul_f64 v[143:144], v[85:86], s[18:19]
	v_mul_f64 v[145:146], v[61:62], s[18:19]
	;; [unrolled: 1-line block ×8, first 2 shown]
	v_fma_f64 v[149:150], v[59:60], s[16:17], v[143:144]
	v_fma_f64 v[185:186], v[57:58], s[16:17], -v[145:146]
	v_fma_f64 v[189:190], v[65:66], s[28:29], v[147:148]
	v_fma_f64 v[143:144], v[59:60], s[16:17], -v[143:144]
	v_fma_f64 v[195:196], v[63:64], s[28:29], -v[153:154]
	v_fma_f64 v[199:200], v[73:74], s[8:9], v[187:188]
	v_fma_f64 v[147:148], v[65:66], s[28:29], -v[147:148]
	v_fma_f64 v[201:202], v[69:70], s[8:9], -v[193:194]
	v_add_f64 v[149:150], v[22:23], v[149:150]
	v_add_f64 v[185:186], v[20:21], v[185:186]
	v_fma_f64 v[203:204], v[83:84], s[2:3], v[197:198]
	v_add_f64 v[143:144], v[22:23], v[143:144]
	v_fma_f64 v[187:188], v[73:74], s[8:9], -v[187:188]
	v_fma_f64 v[197:198], v[83:84], s[2:3], -v[197:198]
	v_fma_f64 v[209:210], v[57:58], s[16:17], v[145:146]
	v_fma_f64 v[153:154], v[63:64], s[28:29], v[153:154]
	v_add_f64 v[149:150], v[189:190], v[149:150]
	v_mul_f64 v[189:190], v[89:90], s[34:35]
	v_add_f64 v[185:186], v[195:196], v[185:186]
	v_mul_f64 v[195:196], v[109:110], s[22:23]
	;; [unrolled: 2-line block ×3, first 2 shown]
	v_add_f64 v[209:210], v[20:21], v[209:210]
	v_fma_f64 v[193:194], v[69:70], s[8:9], v[193:194]
	v_add_f64 v[149:150], v[199:200], v[149:150]
	v_fma_f64 v[199:200], v[79:80], s[2:3], -v[189:190]
	v_add_f64 v[185:186], v[201:202], v[185:186]
	v_fma_f64 v[207:208], v[97:98], s[24:25], v[195:196]
	v_add_f64 v[143:144], v[187:188], v[143:144]
	v_fma_f64 v[187:188], v[91:92], s[24:25], -v[147:148]
	v_fma_f64 v[195:196], v[97:98], s[24:25], -v[195:196]
	v_add_f64 v[153:154], v[153:154], v[209:210]
	v_add_f64 v[149:150], v[203:204], v[149:150]
	v_mul_f64 v[203:204], v[85:86], s[14:15]
	v_add_f64 v[185:186], v[199:200], v[185:186]
	v_mul_f64 v[217:218], v[105:106], s[18:19]
	v_add_f64 v[197:198], v[197:198], v[143:144]
	v_fma_f64 v[219:220], v[73:74], s[28:29], v[211:212]
	v_fma_f64 v[189:190], v[79:80], s[2:3], v[189:190]
	v_add_f64 v[153:154], v[193:194], v[153:154]
	v_add_f64 v[145:146], v[207:208], v[149:150]
	v_mul_f64 v[207:208], v[61:62], s[14:15]
	v_add_f64 v[143:144], v[187:188], v[185:186]
	v_mul_f64 v[185:186], v[75:76], s[30:31]
	v_fma_f64 v[187:188], v[59:60], s[8:9], v[203:204]
	v_add_f64 v[149:150], v[195:196], v[197:198]
	v_mul_f64 v[195:196], v[67:68], s[30:31]
	v_fma_f64 v[221:222], v[83:84], s[16:17], v[217:218]
	v_mul_f64 v[151:152], v[85:86], s[22:23]
	v_fma_f64 v[197:198], v[57:58], s[8:9], -v[207:208]
	v_fma_f64 v[147:148], v[91:92], s[24:25], v[147:148]
	v_fma_f64 v[213:214], v[65:66], s[24:25], v[185:186]
	v_add_f64 v[187:188], v[22:23], v[187:188]
	v_add_f64 v[153:154], v[189:190], v[153:154]
	v_fma_f64 v[215:216], v[63:64], s[24:25], -v[195:196]
	v_fma_f64 v[207:208], v[57:58], s[8:9], v[207:208]
	v_mul_f64 v[159:160], v[57:58], s[24:25]
	v_add_f64 v[197:198], v[20:21], v[197:198]
	v_mul_f64 v[209:210], v[71:72], s[26:27]
	v_add_f64 v[127:128], v[127:128], -v[151:152]
	v_add_f64 v[187:188], v[213:214], v[187:188]
	v_add_f64 v[147:148], v[147:148], v[153:154]
	;; [unrolled: 1-line block ×4, first 2 shown]
	v_mul_f64 v[157:158], v[85:86], s[6:7]
	v_add_f64 v[197:198], v[215:216], v[197:198]
	v_mul_f64 v[215:216], v[109:110], s[34:35]
	v_mul_f64 v[169:170], v[63:64], s[16:17]
	v_add_f64 v[187:188], v[219:220], v[187:188]
	v_mul_f64 v[175:176], v[93:94], s[34:35]
	v_mul_f64 v[193:194], v[89:90], s[18:19]
	v_add_f64 v[133:134], v[133:134], -v[165:166]
	v_add_f64 v[127:128], v[22:23], v[127:128]
	v_add_f64 v[117:118], v[159:160], v[117:118]
	v_fma_f64 v[189:190], v[97:98], s[2:3], v[215:216]
	v_fma_f64 v[159:160], v[69:70], s[28:29], v[209:210]
	v_add_f64 v[187:188], v[221:222], v[187:188]
	v_add_f64 v[14:15], v[14:15], v[30:31]
	;; [unrolled: 1-line block ×3, first 2 shown]
	v_mul_f64 v[163:164], v[75:76], s[14:15]
	v_mul_f64 v[173:174], v[69:70], s[2:3]
	;; [unrolled: 1-line block ×3, first 2 shown]
	v_add_f64 v[129:130], v[129:130], -v[175:176]
	v_add_f64 v[127:128], v[133:134], v[127:128]
	v_add_f64 v[153:154], v[189:190], v[187:188]
	v_fma_f64 v[189:190], v[63:64], s[24:25], v[195:196]
	v_add_f64 v[195:196], v[20:21], v[207:208]
	v_add_f64 v[123:124], v[169:170], v[123:124]
	;; [unrolled: 1-line block ×3, first 2 shown]
	v_fma_f64 v[133:134], v[79:80], s[16:17], v[193:194]
	v_add_f64 v[99:100], v[99:100], -v[157:158]
	v_add_f64 v[14:15], v[14:15], v[34:35]
	v_add_f64 v[28:29], v[28:29], v[32:33]
	v_mul_f64 v[155:156], v[57:58], s[2:3]
	v_add_f64 v[189:190], v[189:190], v[195:196]
	v_add_f64 v[127:128], v[129:130], v[127:128]
	;; [unrolled: 1-line block ×4, first 2 shown]
	v_fma_f64 v[123:124], v[91:92], s[2:3], v[219:220]
	v_add_f64 v[157:158], v[22:23], v[99:100]
	v_add_f64 v[14:15], v[14:15], v[42:43]
	;; [unrolled: 1-line block ×4, first 2 shown]
	v_mul_f64 v[161:162], v[63:64], s[8:9]
	v_mul_f64 v[179:180], v[105:106], s[30:31]
	v_add_f64 v[117:118], v[121:122], v[117:118]
	v_add_f64 v[111:112], v[111:112], -v[167:168]
	v_add_f64 v[121:122], v[155:156], v[81:82]
	v_mul_f64 v[85:86], v[85:86], s[26:27]
	v_mul_f64 v[40:41], v[61:62], s[26:27]
	v_add_f64 v[129:130], v[133:134], v[159:160]
	v_add_f64 v[133:134], v[101:102], -v[163:164]
	v_add_f64 v[14:15], v[14:15], v[46:47]
	v_add_f64 v[28:29], v[28:29], v[44:45]
	v_mul_f64 v[171:172], v[69:70], s[16:17]
	v_fma_f64 v[203:204], v[59:60], s[8:9], -v[203:204]
	v_add_f64 v[113:114], v[113:114], -v[179:180]
	v_add_f64 v[87:88], v[161:162], v[87:88]
	v_add_f64 v[99:100], v[123:124], v[129:130]
	;; [unrolled: 1-line block ×4, first 2 shown]
	v_mul_f64 v[75:76], v[75:76], s[6:7]
	v_mul_f64 v[61:62], v[67:68], s[6:7]
	v_fma_f64 v[44:45], v[57:58], s[28:29], v[40:41]
	v_fma_f64 v[40:41], v[57:58], s[28:29], -v[40:41]
	v_add_f64 v[14:15], v[14:15], v[50:51]
	v_add_f64 v[28:29], v[28:29], v[48:49]
	;; [unrolled: 1-line block ×3, first 2 shown]
	v_fma_f64 v[123:124], v[59:60], s[28:29], v[85:86]
	v_fma_f64 v[59:60], v[59:60], s[28:29], -v[85:86]
	v_mul_f64 v[177:178], v[79:80], s[24:25]
	v_add_f64 v[203:204], v[22:23], v[203:204]
	v_add_f64 v[77:78], v[171:172], v[77:78]
	;; [unrolled: 1-line block ×3, first 2 shown]
	v_mul_f64 v[93:94], v[93:94], s[22:23]
	v_add_f64 v[111:112], v[113:114], v[111:112]
	v_fma_f64 v[30:31], v[65:66], s[2:3], v[75:76]
	v_add_f64 v[113:114], v[22:23], v[123:124]
	v_mul_f64 v[46:47], v[71:72], s[22:23]
	v_fma_f64 v[57:58], v[65:66], s[2:3], -v[75:76]
	v_add_f64 v[22:23], v[22:23], v[59:60]
	v_fma_f64 v[59:60], v[63:64], s[2:3], v[61:62]
	v_add_f64 v[44:45], v[20:21], v[44:45]
	v_fma_f64 v[185:186], v[65:66], s[24:25], -v[185:186]
	v_fma_f64 v[48:49], v[63:64], s[2:3], -v[61:62]
	v_add_f64 v[20:21], v[20:21], v[40:41]
	v_add_f64 v[14:15], v[14:15], v[38:39]
	;; [unrolled: 1-line block ×5, first 2 shown]
	v_mul_f64 v[87:88], v[105:106], s[14:15]
	v_fma_f64 v[32:33], v[73:74], s[24:25], v[93:94]
	v_add_f64 v[30:31], v[30:31], v[113:114]
	v_mul_f64 v[42:43], v[89:90], s[14:15]
	v_fma_f64 v[40:41], v[73:74], s[24:25], -v[93:94]
	v_add_f64 v[22:23], v[57:58], v[22:23]
	v_fma_f64 v[50:51], v[69:70], s[24:25], v[46:47]
	v_add_f64 v[36:37], v[59:60], v[44:45]
	v_mul_f64 v[181:182], v[79:80], s[28:29]
	v_mul_f64 v[183:184], v[105:106], s[26:27]
	v_fma_f64 v[187:188], v[73:74], s[28:29], -v[211:212]
	v_add_f64 v[185:186], v[185:186], v[203:204]
	v_fma_f64 v[213:214], v[69:70], s[28:29], -v[209:210]
	v_fma_f64 v[38:39], v[69:70], s[24:25], -v[46:47]
	v_add_f64 v[20:21], v[48:49], v[20:21]
	v_add_f64 v[14:15], v[14:15], v[26:27]
	;; [unrolled: 1-line block ×4, first 2 shown]
	v_mul_f64 v[95:96], v[109:110], s[18:19]
	v_add_f64 v[30:31], v[32:33], v[30:31]
	v_mul_f64 v[32:33], v[103:104], s[18:19]
	v_fma_f64 v[44:45], v[83:84], s[8:9], -v[87:88]
	v_add_f64 v[22:23], v[40:41], v[22:23]
	v_fma_f64 v[40:41], v[79:80], s[8:9], v[42:43]
	v_add_f64 v[26:27], v[50:51], v[36:37]
	v_mul_f64 v[191:192], v[91:92], s[28:29]
	v_mul_f64 v[201:202], v[109:110], s[36:37]
	;; [unrolled: 1-line block ×4, first 2 shown]
	v_add_f64 v[135:136], v[135:136], -v[183:184]
	v_add_f64 v[125:126], v[181:182], v[125:126]
	v_fma_f64 v[165:166], v[83:84], s[16:17], -v[217:218]
	v_add_f64 v[185:186], v[187:188], v[185:186]
	v_fma_f64 v[223:224], v[79:80], s[16:17], -v[193:194]
	v_add_f64 v[197:198], v[213:214], v[197:198]
	v_fma_f64 v[105:106], v[83:84], s[8:9], v[87:88]
	v_fma_f64 v[28:29], v[79:80], s[8:9], -v[42:43]
	v_add_f64 v[20:21], v[38:39], v[20:21]
	v_add_f64 v[14:15], v[14:15], v[18:19]
	;; [unrolled: 1-line block ×3, first 2 shown]
	v_fma_f64 v[36:37], v[97:98], s[16:17], -v[95:96]
	v_add_f64 v[22:23], v[44:45], v[22:23]
	v_fma_f64 v[38:39], v[91:92], s[16:17], v[32:33]
	v_add_f64 v[24:25], v[40:41], v[26:27]
	v_add_f64 v[115:116], v[115:116], -v[201:202]
	v_add_f64 v[34:35], v[191:192], v[107:108]
	v_add_f64 v[131:132], v[131:132], -v[199:200]
	v_add_f64 v[127:128], v[135:136], v[127:128]
	v_add_f64 v[119:120], v[205:206], v[119:120]
	;; [unrolled: 1-line block ×3, first 2 shown]
	v_fma_f64 v[187:188], v[97:98], s[2:3], -v[215:216]
	v_add_f64 v[165:166], v[165:166], v[185:186]
	v_fma_f64 v[213:214], v[91:92], s[2:3], -v[219:220]
	v_add_f64 v[197:198], v[223:224], v[197:198]
	v_fma_f64 v[26:27], v[97:98], s[16:17], v[95:96]
	v_add_f64 v[30:31], v[105:106], v[30:31]
	v_fma_f64 v[32:33], v[91:92], s[16:17], -v[32:33]
	v_add_f64 v[28:29], v[28:29], v[20:21]
	v_add_f64 v[20:21], v[14:15], v[10:11]
	;; [unrolled: 1-line block ×10, first 2 shown]
	v_mul_u32_u24_e32 v8, 0xa0, v56
	v_add_f64 v[151:152], v[213:214], v[197:198]
	v_add3_u32 v8, v142, v8, v141
	v_add_f64 v[24:25], v[26:27], v[30:31]
	v_add_f64 v[22:23], v[32:33], v[28:29]
	ds_write_b128 v8, v[18:21]
	ds_write_b128 v8, v[14:17] offset:16
	ds_write_b128 v8, v[10:13] offset:32
	;; [unrolled: 1-line block ×10, first 2 shown]
.LBB0_14:
	s_or_b64 exec, exec, s[20:21]
	s_waitcnt lgkmcnt(0)
	s_barrier
	ds_read_b128 v[8:11], v138
	ds_read_b128 v[12:15], v140 offset:352
	ds_read_b128 v[28:31], v140 offset:1584
	;; [unrolled: 1-line block ×7, first 2 shown]
	v_cmp_gt_u32_e64 s[0:1], 11, v56
	s_and_saveexec_b64 s[2:3], s[0:1]
	s_cbranch_execz .LBB0_16
; %bb.15:
	ds_read_b128 v[0:3], v140 offset:1408
	ds_read_b128 v[4:7], v140 offset:2992
.LBB0_16:
	s_or_b64 exec, exec, s[2:3]
	v_add_u32_e32 v40, -11, v56
	v_cndmask_b32_e64 v40, v40, v56, s[0:1]
	v_mov_b32_e32 v41, 0
	v_lshlrev_b64 v[42:43], 4, v[40:41]
	v_mov_b32_e32 v44, s13
	v_add_co_u32_e64 v57, s[2:3], s12, v42
	v_add_u16_e32 v42, 22, v56
	s_movk_i32 s6, 0x75
	v_addc_co_u32_e64 v58, s[2:3], v44, v43, s[2:3]
	v_mul_lo_u16_sdwa v43, v42, s6 dst_sel:DWORD dst_unused:UNUSED_PAD src0_sel:BYTE_0 src1_sel:DWORD
	v_sub_u16_sdwa v44, v42, v43 dst_sel:DWORD dst_unused:UNUSED_PAD src0_sel:DWORD src1_sel:BYTE_1
	v_lshrrev_b16_e32 v44, 1, v44
	v_and_b32_e32 v44, 0x7f, v44
	v_add_u16_sdwa v43, v44, v43 dst_sel:DWORD dst_unused:UNUSED_PAD src0_sel:DWORD src1_sel:BYTE_1
	v_lshrrev_b16_e32 v51, 3, v43
	v_mul_lo_u16_e32 v43, 11, v51
	v_sub_u16_e32 v43, v42, v43
	v_mov_b32_e32 v42, 4
	v_lshlrev_b32_sdwa v65, v42, v43 dst_sel:DWORD dst_unused:UNUSED_PAD src0_sel:DWORD src1_sel:BYTE_0
	global_load_dwordx4 v[43:46], v[57:58], off
	global_load_dwordx4 v[47:50], v65, s[12:13]
	v_add_u16_e32 v57, 44, v56
	v_mul_lo_u16_sdwa v58, v57, s6 dst_sel:DWORD dst_unused:UNUSED_PAD src0_sel:BYTE_0 src1_sel:DWORD
	v_sub_u16_sdwa v59, v57, v58 dst_sel:DWORD dst_unused:UNUSED_PAD src0_sel:DWORD src1_sel:BYTE_1
	v_lshrrev_b16_e32 v59, 1, v59
	v_and_b32_e32 v59, 0x7f, v59
	v_add_u16_sdwa v58, v59, v58 dst_sel:DWORD dst_unused:UNUSED_PAD src0_sel:DWORD src1_sel:BYTE_1
	v_lshrrev_b16_e32 v66, 3, v58
	v_mul_lo_u16_e32 v58, 11, v66
	v_sub_u16_e32 v57, v57, v58
	v_lshlrev_b32_sdwa v67, v42, v57 dst_sel:DWORD dst_unused:UNUSED_PAD src0_sel:DWORD src1_sel:BYTE_0
	v_add_u16_e32 v57, 0x42, v56
	v_mul_lo_u16_sdwa v58, v57, s6 dst_sel:DWORD dst_unused:UNUSED_PAD src0_sel:BYTE_0 src1_sel:DWORD
	v_sub_u16_sdwa v59, v57, v58 dst_sel:DWORD dst_unused:UNUSED_PAD src0_sel:DWORD src1_sel:BYTE_1
	v_lshrrev_b16_e32 v59, 1, v59
	v_and_b32_e32 v59, 0x7f, v59
	v_add_u16_sdwa v58, v59, v58 dst_sel:DWORD dst_unused:UNUSED_PAD src0_sel:DWORD src1_sel:BYTE_1
	v_lshrrev_b16_e32 v68, 3, v58
	v_mul_lo_u16_e32 v58, 11, v68
	v_sub_u16_e32 v61, v57, v58
	global_load_dwordx4 v[57:60], v67, s[12:13]
	v_lshlrev_b32_sdwa v73, v42, v61 dst_sel:DWORD dst_unused:UNUSED_PAD src0_sel:DWORD src1_sel:BYTE_0
	global_load_dwordx4 v[61:64], v73, s[12:13]
	s_movk_i32 s7, 0x160
	v_mad_u32_u24 v51, v51, s7, 0
	v_mad_u32_u24 v66, v66, s7, 0
	v_mov_b32_e32 v69, 0x160
	v_cmp_lt_u32_e64 s[2:3], 10, v56
	v_add3_u32 v51, v51, v65, v141
	v_add3_u32 v75, v66, v67, v141
	v_cndmask_b32_e64 v69, 0, v69, s[2:3]
	v_add_u32_e32 v69, 0, v69
	v_lshlrev_b32_e32 v40, 4, v40
	v_mad_u32_u24 v74, v68, s7, 0
	v_add3_u32 v40, v69, v40, v141
	s_load_dwordx2 s[4:5], s[4:5], 0x0
	s_waitcnt vmcnt(0) lgkmcnt(0)
	s_barrier
	v_mul_f64 v[65:66], v[30:31], v[45:46]
	v_mul_f64 v[45:46], v[28:29], v[45:46]
	;; [unrolled: 1-line block ×4, first 2 shown]
	v_fma_f64 v[28:29], v[28:29], v[43:44], v[65:66]
	v_fma_f64 v[30:31], v[30:31], v[43:44], -v[45:46]
	v_fma_f64 v[43:44], v[24:25], v[47:48], v[67:68]
	v_fma_f64 v[45:46], v[26:27], v[47:48], -v[49:50]
	v_add_f64 v[24:25], v[8:9], -v[28:29]
	v_add_f64 v[26:27], v[10:11], -v[30:31]
	;; [unrolled: 1-line block ×4, first 2 shown]
	v_add3_u32 v43, v74, v73, v141
	v_mul_f64 v[69:70], v[38:39], v[59:60]
	v_mul_f64 v[59:60], v[36:37], v[59:60]
	;; [unrolled: 1-line block ×4, first 2 shown]
	v_fma_f64 v[8:9], v[8:9], 2.0, -v[24:25]
	v_fma_f64 v[10:11], v[10:11], 2.0, -v[26:27]
	;; [unrolled: 1-line block ×4, first 2 shown]
	v_fma_f64 v[36:37], v[36:37], v[57:58], v[69:70]
	v_fma_f64 v[38:39], v[38:39], v[57:58], -v[59:60]
	v_fma_f64 v[47:48], v[32:33], v[61:62], v[71:72]
	v_fma_f64 v[49:50], v[34:35], v[61:62], -v[63:64]
	v_add_f64 v[32:33], v[16:17], -v[36:37]
	v_add_f64 v[34:35], v[18:19], -v[38:39]
	;; [unrolled: 1-line block ×4, first 2 shown]
	v_fma_f64 v[16:17], v[16:17], 2.0, -v[32:33]
	v_fma_f64 v[18:19], v[18:19], 2.0, -v[34:35]
	;; [unrolled: 1-line block ×4, first 2 shown]
	ds_write_b128 v40, v[24:27] offset:176
	ds_write_b128 v40, v[8:11]
	ds_write_b128 v51, v[28:31] offset:176
	ds_write_b128 v51, v[12:15]
	ds_write_b128 v75, v[16:19]
	ds_write_b128 v75, v[32:35] offset:176
	ds_write_b128 v43, v[20:23]
	ds_write_b128 v43, v[36:39] offset:176
	s_and_saveexec_b64 s[2:3], s[0:1]
	s_cbranch_execz .LBB0_18
; %bb.17:
	v_add_u16_e32 v8, 0x58, v56
	v_mul_lo_u16_sdwa v9, v8, s6 dst_sel:DWORD dst_unused:UNUSED_PAD src0_sel:BYTE_0 src1_sel:DWORD
	v_sub_u16_sdwa v10, v8, v9 dst_sel:DWORD dst_unused:UNUSED_PAD src0_sel:DWORD src1_sel:BYTE_1
	v_lshrrev_b16_e32 v10, 1, v10
	v_and_b32_e32 v10, 0x7f, v10
	v_add_u16_sdwa v9, v10, v9 dst_sel:DWORD dst_unused:UNUSED_PAD src0_sel:DWORD src1_sel:BYTE_1
	v_lshrrev_b16_e32 v9, 3, v9
	v_mul_lo_u16_e32 v9, 11, v9
	v_sub_u16_e32 v8, v8, v9
	v_lshlrev_b32_sdwa v14, v42, v8 dst_sel:DWORD dst_unused:UNUSED_PAD src0_sel:DWORD src1_sel:BYTE_0
	global_load_dwordx4 v[8:11], v14, s[12:13]
	s_waitcnt vmcnt(0)
	v_mul_f64 v[12:13], v[4:5], v[10:11]
	v_mul_f64 v[10:11], v[6:7], v[10:11]
	v_fma_f64 v[6:7], v[6:7], v[8:9], -v[12:13]
	v_fma_f64 v[4:5], v[4:5], v[8:9], v[10:11]
	v_add3_u32 v8, 0, v14, v141
	v_add_f64 v[6:7], v[2:3], -v[6:7]
	v_add_f64 v[4:5], v[0:1], -v[4:5]
	v_fma_f64 v[2:3], v[2:3], 2.0, -v[6:7]
	v_fma_f64 v[0:1], v[0:1], 2.0, -v[4:5]
	ds_write_b128 v8, v[0:3] offset:2816
	ds_write_b128 v8, v[4:7] offset:2992
.LBB0_18:
	s_or_b64 exec, exec, s[2:3]
	v_lshlrev_b32_e32 v40, 3, v56
	v_lshlrev_b64 v[0:1], 4, v[40:41]
	v_mov_b32_e32 v2, s13
	v_add_co_u32_e64 v32, s[2:3], s12, v0
	v_addc_co_u32_e64 v33, s[2:3], v2, v1, s[2:3]
	s_waitcnt lgkmcnt(0)
	s_barrier
	global_load_dwordx4 v[0:3], v[32:33], off offset:176
	global_load_dwordx4 v[4:7], v[32:33], off offset:192
	;; [unrolled: 1-line block ×8, first 2 shown]
	ds_read_b128 v[32:35], v138
	ds_read_b128 v[36:39], v140 offset:352
	ds_read_b128 v[40:43], v140 offset:704
	;; [unrolled: 1-line block ×8, first 2 shown]
	s_mov_b32 s22, 0xa2cf5039
	s_mov_b32 s7, 0x3fe491b7
	;; [unrolled: 1-line block ×16, first 2 shown]
	s_waitcnt vmcnt(0) lgkmcnt(0)
	s_barrier
	v_mul_f64 v[73:74], v[38:39], v[2:3]
	v_mul_f64 v[2:3], v[36:37], v[2:3]
	;; [unrolled: 1-line block ×16, first 2 shown]
	v_fma_f64 v[36:37], v[36:37], v[0:1], v[73:74]
	v_fma_f64 v[0:1], v[38:39], v[0:1], -v[2:3]
	v_fma_f64 v[2:3], v[40:41], v[4:5], v[75:76]
	v_fma_f64 v[4:5], v[42:43], v[4:5], -v[6:7]
	v_fma_f64 v[6:7], v[44:45], v[8:9], v[77:78]
	v_fma_f64 v[8:9], v[46:47], v[8:9], -v[10:11]
	v_fma_f64 v[38:39], v[48:49], v[12:13], v[79:80]
	v_fma_f64 v[12:13], v[50:51], v[12:13], -v[14:15]
	v_fma_f64 v[10:11], v[69:70], v[28:29], v[87:88]
	v_fma_f64 v[14:15], v[71:72], v[28:29], -v[30:31]
	v_fma_f64 v[28:29], v[65:66], v[24:25], v[85:86]
	v_fma_f64 v[24:25], v[67:68], v[24:25], -v[26:27]
	v_fma_f64 v[26:27], v[61:62], v[20:21], v[83:84]
	v_fma_f64 v[20:21], v[63:64], v[20:21], -v[22:23]
	v_fma_f64 v[22:23], v[57:58], v[16:17], v[81:82]
	v_fma_f64 v[16:17], v[59:60], v[16:17], -v[18:19]
	v_add_f64 v[18:19], v[36:37], v[10:11]
	v_add_f64 v[30:31], v[0:1], v[14:15]
	v_add_f64 v[36:37], v[36:37], -v[10:11]
	v_add_f64 v[14:15], v[0:1], -v[14:15]
	v_add_f64 v[40:41], v[2:3], v[28:29]
	v_add_f64 v[42:43], v[4:5], v[24:25]
	;; [unrolled: 1-line block ×4, first 2 shown]
	v_add_f64 v[0:1], v[2:3], -v[28:29]
	v_add_f64 v[4:5], v[4:5], -v[24:25]
	;; [unrolled: 1-line block ×5, first 2 shown]
	v_add_f64 v[8:9], v[12:13], v[16:17]
	v_mul_f64 v[26:27], v[36:37], s[6:7]
	v_mul_f64 v[28:29], v[14:15], s[6:7]
	v_fma_f64 v[48:49], v[18:19], s[22:23], v[32:33]
	v_fma_f64 v[50:51], v[30:31], s[22:23], v[34:35]
	v_add_f64 v[6:7], v[38:39], v[22:23]
	v_add_f64 v[10:11], v[12:13], -v[16:17]
	s_mov_b32 s7, 0xbfe491b7
	v_fma_f64 v[59:60], v[8:9], s[22:23], v[34:35]
	v_mul_f64 v[81:82], v[2:3], s[6:7]
	v_fma_f64 v[26:27], v[0:1], s[14:15], v[26:27]
	v_fma_f64 v[28:29], v[4:5], s[14:15], v[28:29]
	;; [unrolled: 1-line block ×5, first 2 shown]
	v_mul_f64 v[83:84], v[10:11], s[6:7]
	v_fma_f64 v[59:60], v[30:31], s[18:19], v[59:60]
	v_fma_f64 v[81:82], v[36:37], s[14:15], v[81:82]
	;; [unrolled: 1-line block ×4, first 2 shown]
	v_fma_f64 v[48:49], v[44:45], -0.5, v[48:49]
	v_fma_f64 v[50:51], v[46:47], -0.5, v[50:51]
	v_fma_f64 v[57:58], v[18:19], s[18:19], v[57:58]
	v_fma_f64 v[83:84], v[14:15], s[14:15], v[83:84]
	v_add_f64 v[61:62], v[2:3], v[36:37]
	v_add_f64 v[63:64], v[10:11], v[14:15]
	v_mul_f64 v[73:74], v[2:3], s[14:15]
	v_mul_f64 v[75:76], v[10:11], s[14:15]
	v_fma_f64 v[59:60], v[46:47], -0.5, v[59:60]
	v_fma_f64 v[81:82], v[24:25], s[20:21], v[81:82]
	v_fma_f64 v[26:27], v[2:3], s[8:9], v[26:27]
	;; [unrolled: 1-line block ×7, first 2 shown]
	v_fma_f64 v[57:58], v[44:45], -0.5, v[57:58]
	v_fma_f64 v[83:84], v[20:21], s[20:21], v[83:84]
	v_add_f64 v[69:70], v[40:41], v[18:19]
	v_add_f64 v[71:72], v[42:43], v[30:31]
	v_add_f64 v[61:62], v[61:62], -v[0:1]
	v_fma_f64 v[50:51], v[0:1], s[6:7], -v[73:74]
	v_fma_f64 v[42:43], v[42:43], s[16:17], v[59:60]
	v_fma_f64 v[59:60], v[0:1], s[8:9], v[81:82]
	v_add_f64 v[0:1], v[2:3], -v[10:11]
	v_add_f64 v[2:3], v[26:27], v[28:29]
	v_fma_f64 v[40:41], v[40:41], s[16:17], v[57:58]
	v_fma_f64 v[57:58], v[4:5], s[8:9], v[83:84]
	v_fma_f64 v[28:29], v[4:5], s[6:7], -v[75:76]
	v_fma_f64 v[73:74], v[6:7], s[18:19], v[77:78]
	v_fma_f64 v[75:76], v[8:9], s[18:19], v[79:80]
	v_add_f64 v[85:86], v[6:7], v[69:70]
	v_add_f64 v[48:49], v[8:9], v[71:72]
	;; [unrolled: 1-line block ×3, first 2 shown]
	v_fma_f64 v[8:9], v[10:11], 2.0, v[0:1]
	v_fma_f64 v[10:11], v[26:27], -2.0, v[2:3]
	v_add_f64 v[26:27], v[46:47], v[71:72]
	v_add_f64 v[63:64], v[63:64], -v[4:5]
	v_add_f64 v[4:5], v[40:41], -v[57:58]
	v_fma_f64 v[24:25], v[24:25], s[2:3], v[50:51]
	v_fma_f64 v[20:21], v[20:21], s[2:3], v[28:29]
	v_fma_f64 v[28:29], v[44:45], -0.5, v[73:74]
	v_fma_f64 v[40:41], v[46:47], -0.5, v[75:76]
	v_add_f64 v[65:66], v[32:33], v[44:45]
	v_add_f64 v[67:68], v[34:35], v[46:47]
	;; [unrolled: 1-line block ×4, first 2 shown]
	v_fma_f64 v[36:37], v[36:37], s[8:9], v[24:25]
	v_fma_f64 v[46:47], v[14:15], s[8:9], v[20:21]
	;; [unrolled: 1-line block ×4, first 2 shown]
	v_add_f64 v[6:7], v[59:60], v[42:43]
	v_fma_f64 v[42:43], v[85:86], -0.5, v[65:66]
	v_fma_f64 v[44:45], v[48:49], -0.5, v[67:68]
	v_add_f64 v[24:25], v[22:23], v[38:39]
	v_add_f64 v[26:27], v[16:17], v[12:13]
	v_mul_f64 v[30:31], v[61:62], s[2:3]
	v_add_f64 v[16:17], v[18:19], -v[46:47]
	v_add_f64 v[18:19], v[36:37], v[20:21]
	v_mul_f64 v[28:29], v[63:64], s[2:3]
	v_fma_f64 v[12:13], v[63:64], s[20:21], v[42:43]
	v_fma_f64 v[14:15], v[61:62], s[2:3], v[44:45]
	v_add_f64 v[24:25], v[32:33], v[24:25]
	v_add_f64 v[26:27], v[34:35], v[26:27]
	v_fma_f64 v[20:21], v[57:58], 2.0, v[4:5]
	v_fma_f64 v[32:33], v[46:47], 2.0, v[16:17]
	v_fma_f64 v[34:35], v[36:37], -2.0, v[18:19]
	v_fma_f64 v[22:23], v[59:60], -2.0, v[6:7]
	v_fma_f64 v[28:29], v[28:29], 2.0, v[12:13]
	v_fma_f64 v[30:31], v[30:31], -2.0, v[14:15]
	ds_write_b128 v140, v[24:27]
	ds_write_b128 v140, v[0:3] offset:352
	ds_write_b128 v140, v[4:7] offset:704
	;; [unrolled: 1-line block ×8, first 2 shown]
	s_waitcnt lgkmcnt(0)
	s_barrier
	ds_read_b128 v[4:7], v138
	v_sub_u32_e32 v12, v137, v139
	v_cmp_ne_u32_e64 s[2:3], 0, v56
                                        ; implicit-def: $vgpr2_vgpr3
                                        ; implicit-def: $vgpr8_vgpr9
                                        ; implicit-def: $vgpr10_vgpr11
	s_and_saveexec_b64 s[6:7], s[2:3]
	s_xor_b64 s[6:7], exec, s[6:7]
	s_cbranch_execz .LBB0_20
; %bb.19:
	v_mov_b32_e32 v57, 0
	v_lshlrev_b64 v[0:1], 4, v[56:57]
	v_mov_b32_e32 v2, s13
	v_add_co_u32_e64 v0, s[2:3], s12, v0
	v_addc_co_u32_e64 v1, s[2:3], v2, v1, s[2:3]
	global_load_dwordx4 v[0:3], v[0:1], off offset:2992
	ds_read_b128 v[8:11], v12 offset:3168
	s_waitcnt lgkmcnt(0)
	v_add_f64 v[13:14], v[4:5], -v[8:9]
	v_add_f64 v[15:16], v[6:7], v[10:11]
	v_add_f64 v[6:7], v[6:7], -v[10:11]
	v_add_f64 v[4:5], v[4:5], v[8:9]
	v_mul_f64 v[10:11], v[13:14], 0.5
	v_mul_f64 v[13:14], v[15:16], 0.5
	v_mul_f64 v[6:7], v[6:7], 0.5
	s_waitcnt vmcnt(0)
	v_mul_f64 v[8:9], v[10:11], v[2:3]
	v_fma_f64 v[15:16], v[13:14], v[2:3], v[6:7]
	v_fma_f64 v[2:3], v[13:14], v[2:3], -v[6:7]
	v_fma_f64 v[17:18], v[4:5], 0.5, v[8:9]
	v_fma_f64 v[4:5], v[4:5], 0.5, -v[8:9]
	v_fma_f64 v[8:9], -v[0:1], v[10:11], v[15:16]
	v_fma_f64 v[2:3], -v[0:1], v[10:11], v[2:3]
	v_mov_b32_e32 v10, v56
	v_mov_b32_e32 v11, v57
	v_fma_f64 v[6:7], v[13:14], v[0:1], v[17:18]
	v_fma_f64 v[0:1], -v[13:14], v[0:1], v[4:5]
                                        ; implicit-def: $vgpr4_vgpr5
	ds_write_b64 v138, v[6:7]
.LBB0_20:
	s_andn2_saveexec_b64 s[2:3], s[6:7]
	s_cbranch_execz .LBB0_22
; %bb.21:
	s_waitcnt lgkmcnt(0)
	v_add_f64 v[2:3], v[4:5], v[6:7]
	ds_read_b64 v[13:14], v137 offset:1592
	v_add_f64 v[0:1], v[4:5], -v[6:7]
	v_mov_b32_e32 v8, 0
	v_mov_b32_e32 v10, 0
	;; [unrolled: 1-line block ×3, first 2 shown]
	s_waitcnt lgkmcnt(0)
	v_xor_b32_e32 v14, 0x80000000, v14
	ds_write_b64 v137, v[13:14] offset:1592
	ds_write_b64 v138, v[2:3]
	v_mov_b32_e32 v2, v8
	v_mov_b32_e32 v11, 0
	;; [unrolled: 1-line block ×3, first 2 shown]
.LBB0_22:
	s_or_b64 exec, exec, s[2:3]
	s_add_u32 s2, s12, 0xbb0
	s_waitcnt lgkmcnt(0)
	v_lshlrev_b64 v[4:5], 4, v[10:11]
	s_addc_u32 s3, s13, 0
	v_mov_b32_e32 v6, s3
	v_add_co_u32_e64 v4, s[2:3], s2, v4
	v_addc_co_u32_e64 v5, s[2:3], v6, v5, s[2:3]
	global_load_dwordx4 v[13:16], v[4:5], off offset:352
	global_load_dwordx4 v[17:20], v[4:5], off offset:704
	ds_write_b64 v138, v[8:9] offset:8
	ds_write_b128 v12, v[0:3] offset:3168
	ds_read_b128 v[0:3], v138 offset:352
	ds_read_b128 v[6:9], v12 offset:2816
	s_waitcnt lgkmcnt(0)
	v_add_f64 v[10:11], v[0:1], -v[6:7]
	v_add_f64 v[21:22], v[2:3], v[8:9]
	v_add_f64 v[2:3], v[2:3], -v[8:9]
	v_add_f64 v[0:1], v[0:1], v[6:7]
	v_mul_f64 v[10:11], v[10:11], 0.5
	v_mul_f64 v[21:22], v[21:22], 0.5
	;; [unrolled: 1-line block ×3, first 2 shown]
	s_waitcnt vmcnt(1)
	v_mul_f64 v[6:7], v[10:11], v[15:16]
	v_fma_f64 v[8:9], v[21:22], v[15:16], v[2:3]
	v_fma_f64 v[15:16], v[21:22], v[15:16], -v[2:3]
	v_fma_f64 v[23:24], v[0:1], 0.5, v[6:7]
	v_fma_f64 v[25:26], v[0:1], 0.5, -v[6:7]
	global_load_dwordx4 v[0:3], v[4:5], off offset:1056
	v_fma_f64 v[8:9], -v[13:14], v[10:11], v[8:9]
	v_fma_f64 v[15:16], -v[13:14], v[10:11], v[15:16]
	v_fma_f64 v[6:7], v[21:22], v[13:14], v[23:24]
	v_fma_f64 v[13:14], -v[21:22], v[13:14], v[25:26]
	ds_write_b128 v138, v[6:9] offset:352
	ds_write_b128 v12, v[13:16] offset:2816
	ds_read_b128 v[6:9], v138 offset:704
	ds_read_b128 v[13:16], v12 offset:2464
	s_waitcnt lgkmcnt(0)
	v_add_f64 v[10:11], v[6:7], -v[13:14]
	v_add_f64 v[21:22], v[8:9], v[15:16]
	v_add_f64 v[8:9], v[8:9], -v[15:16]
	v_add_f64 v[6:7], v[6:7], v[13:14]
	v_mul_f64 v[10:11], v[10:11], 0.5
	v_mul_f64 v[21:22], v[21:22], 0.5
	;; [unrolled: 1-line block ×3, first 2 shown]
	s_waitcnt vmcnt(1)
	v_mul_f64 v[13:14], v[10:11], v[19:20]
	v_fma_f64 v[15:16], v[21:22], v[19:20], v[8:9]
	v_fma_f64 v[19:20], v[21:22], v[19:20], -v[8:9]
	v_fma_f64 v[23:24], v[6:7], 0.5, v[13:14]
	v_fma_f64 v[13:14], v[6:7], 0.5, -v[13:14]
	v_fma_f64 v[8:9], -v[17:18], v[10:11], v[15:16]
	v_fma_f64 v[15:16], -v[17:18], v[10:11], v[19:20]
	v_fma_f64 v[6:7], v[21:22], v[17:18], v[23:24]
	v_fma_f64 v[13:14], -v[21:22], v[17:18], v[13:14]
	ds_write_b128 v138, v[6:9] offset:704
	ds_write_b128 v12, v[13:16] offset:2464
	ds_read_b128 v[6:9], v138 offset:1056
	ds_read_b128 v[13:16], v12 offset:2112
	s_waitcnt lgkmcnt(0)
	v_add_f64 v[10:11], v[6:7], -v[13:14]
	v_add_f64 v[17:18], v[8:9], v[15:16]
	v_add_f64 v[8:9], v[8:9], -v[15:16]
	v_add_f64 v[6:7], v[6:7], v[13:14]
	v_mul_f64 v[10:11], v[10:11], 0.5
	v_mul_f64 v[15:16], v[17:18], 0.5
	;; [unrolled: 1-line block ×3, first 2 shown]
	s_waitcnt vmcnt(0)
	v_mul_f64 v[13:14], v[10:11], v[2:3]
	v_fma_f64 v[17:18], v[15:16], v[2:3], v[8:9]
	v_fma_f64 v[2:3], v[15:16], v[2:3], -v[8:9]
	v_fma_f64 v[19:20], v[6:7], 0.5, v[13:14]
	v_fma_f64 v[13:14], v[6:7], 0.5, -v[13:14]
	v_fma_f64 v[8:9], -v[0:1], v[10:11], v[17:18]
	v_fma_f64 v[2:3], -v[0:1], v[10:11], v[2:3]
	v_fma_f64 v[6:7], v[15:16], v[0:1], v[19:20]
	v_fma_f64 v[0:1], -v[15:16], v[0:1], v[13:14]
	ds_write_b128 v138, v[6:9] offset:1056
	ds_write_b128 v12, v[0:3] offset:2112
	s_and_saveexec_b64 s[2:3], s[0:1]
	s_cbranch_execz .LBB0_24
; %bb.23:
	global_load_dwordx4 v[0:3], v[4:5], off offset:1408
	ds_read_b128 v[4:7], v138 offset:1408
	ds_read_b128 v[8:11], v12 offset:1760
	s_waitcnt lgkmcnt(0)
	v_add_f64 v[13:14], v[4:5], -v[8:9]
	v_add_f64 v[15:16], v[6:7], v[10:11]
	v_add_f64 v[6:7], v[6:7], -v[10:11]
	v_add_f64 v[4:5], v[4:5], v[8:9]
	v_mul_f64 v[10:11], v[13:14], 0.5
	v_mul_f64 v[13:14], v[15:16], 0.5
	;; [unrolled: 1-line block ×3, first 2 shown]
	s_waitcnt vmcnt(0)
	v_mul_f64 v[8:9], v[10:11], v[2:3]
	v_fma_f64 v[15:16], v[13:14], v[2:3], v[6:7]
	v_fma_f64 v[2:3], v[13:14], v[2:3], -v[6:7]
	v_fma_f64 v[6:7], v[4:5], 0.5, v[8:9]
	v_fma_f64 v[17:18], v[4:5], 0.5, -v[8:9]
	v_fma_f64 v[4:5], -v[0:1], v[10:11], v[15:16]
	v_fma_f64 v[8:9], -v[0:1], v[10:11], v[2:3]
	v_fma_f64 v[2:3], v[13:14], v[0:1], v[6:7]
	v_fma_f64 v[6:7], -v[13:14], v[0:1], v[17:18]
	ds_write_b128 v138, v[2:5] offset:1408
	ds_write_b128 v12, v[6:9] offset:1760
.LBB0_24:
	s_or_b64 exec, exec, s[2:3]
	s_waitcnt lgkmcnt(0)
	s_barrier
	s_and_saveexec_b64 s[0:1], vcc
	s_cbranch_execz .LBB0_27
; %bb.25:
	v_mul_lo_u32 v2, s5, v54
	v_mul_lo_u32 v3, s4, v55
	v_mad_u64_u32 v[0:1], s[0:1], s4, v54, 0
	v_mov_b32_e32 v7, s11
	v_mov_b32_e32 v57, 0
	v_add3_u32 v1, v1, v3, v2
	v_lshlrev_b64 v[0:1], 4, v[0:1]
	v_lshl_add_u32 v2, v56, 4, v137
	v_add_co_u32_e32 v8, vcc, s10, v0
	v_addc_co_u32_e32 v7, vcc, v7, v1, vcc
	v_lshlrev_b64 v[0:1], 4, v[52:53]
	ds_read_b128 v[3:6], v2
	v_add_co_u32_e32 v0, vcc, v8, v0
	v_addc_co_u32_e32 v1, vcc, v7, v1, vcc
	v_lshlrev_b64 v[7:8], 4, v[56:57]
	v_add_co_u32_e32 v11, vcc, v0, v7
	v_addc_co_u32_e32 v12, vcc, v1, v8, vcc
	ds_read_b128 v[7:10], v2 offset:352
	s_waitcnt lgkmcnt(1)
	global_store_dwordx4 v[11:12], v[3:6], off
	s_nop 0
	v_add_u32_e32 v3, 22, v56
	v_mov_b32_e32 v4, v57
	v_lshlrev_b64 v[3:4], 4, v[3:4]
	v_add_co_u32_e32 v3, vcc, v0, v3
	v_addc_co_u32_e32 v4, vcc, v1, v4, vcc
	s_waitcnt lgkmcnt(0)
	global_store_dwordx4 v[3:4], v[7:10], off
	ds_read_b128 v[3:6], v2 offset:704
	v_add_u32_e32 v7, 44, v56
	v_mov_b32_e32 v8, v57
	v_lshlrev_b64 v[7:8], 4, v[7:8]
	v_add_co_u32_e32 v11, vcc, v0, v7
	v_addc_co_u32_e32 v12, vcc, v1, v8, vcc
	ds_read_b128 v[7:10], v2 offset:1056
	s_waitcnt lgkmcnt(1)
	global_store_dwordx4 v[11:12], v[3:6], off
	s_nop 0
	v_add_u32_e32 v3, 0x42, v56
	v_mov_b32_e32 v4, v57
	v_lshlrev_b64 v[3:4], 4, v[3:4]
	v_add_co_u32_e32 v3, vcc, v0, v3
	v_addc_co_u32_e32 v4, vcc, v1, v4, vcc
	s_waitcnt lgkmcnt(0)
	global_store_dwordx4 v[3:4], v[7:10], off
	ds_read_b128 v[3:6], v2 offset:1408
	v_add_u32_e32 v7, 0x58, v56
	v_mov_b32_e32 v8, v57
	;; [unrolled: 17-line block ×4, first 2 shown]
	v_lshlrev_b64 v[7:8], 4, v[7:8]
	v_add_co_u32_e32 v7, vcc, v0, v7
	v_addc_co_u32_e32 v8, vcc, v1, v8, vcc
	v_cmp_eq_u32_e32 vcc, 21, v56
	s_waitcnt lgkmcnt(0)
	global_store_dwordx4 v[7:8], v[3:6], off
	s_and_b64 exec, exec, vcc
	s_cbranch_execz .LBB0_27
; %bb.26:
	ds_read_b128 v[2:5], v2 offset:2832
	s_waitcnt lgkmcnt(0)
	global_store_dwordx4 v[0:1], v[2:5], off offset:3168
.LBB0_27:
	s_endpgm
	.section	.rodata,"a",@progbits
	.p2align	6, 0x0
	.amdhsa_kernel fft_rtc_back_len198_factors_11_2_9_wgs_110_tpt_22_dp_op_CI_CI_unitstride_sbrr_R2C_dirReg
		.amdhsa_group_segment_fixed_size 0
		.amdhsa_private_segment_fixed_size 0
		.amdhsa_kernarg_size 104
		.amdhsa_user_sgpr_count 6
		.amdhsa_user_sgpr_private_segment_buffer 1
		.amdhsa_user_sgpr_dispatch_ptr 0
		.amdhsa_user_sgpr_queue_ptr 0
		.amdhsa_user_sgpr_kernarg_segment_ptr 1
		.amdhsa_user_sgpr_dispatch_id 0
		.amdhsa_user_sgpr_flat_scratch_init 0
		.amdhsa_user_sgpr_private_segment_size 0
		.amdhsa_uses_dynamic_stack 0
		.amdhsa_system_sgpr_private_segment_wavefront_offset 0
		.amdhsa_system_sgpr_workgroup_id_x 1
		.amdhsa_system_sgpr_workgroup_id_y 0
		.amdhsa_system_sgpr_workgroup_id_z 0
		.amdhsa_system_sgpr_workgroup_info 0
		.amdhsa_system_vgpr_workitem_id 0
		.amdhsa_next_free_vgpr 225
		.amdhsa_next_free_sgpr 38
		.amdhsa_reserve_vcc 1
		.amdhsa_reserve_flat_scratch 0
		.amdhsa_float_round_mode_32 0
		.amdhsa_float_round_mode_16_64 0
		.amdhsa_float_denorm_mode_32 3
		.amdhsa_float_denorm_mode_16_64 3
		.amdhsa_dx10_clamp 1
		.amdhsa_ieee_mode 1
		.amdhsa_fp16_overflow 0
		.amdhsa_exception_fp_ieee_invalid_op 0
		.amdhsa_exception_fp_denorm_src 0
		.amdhsa_exception_fp_ieee_div_zero 0
		.amdhsa_exception_fp_ieee_overflow 0
		.amdhsa_exception_fp_ieee_underflow 0
		.amdhsa_exception_fp_ieee_inexact 0
		.amdhsa_exception_int_div_zero 0
	.end_amdhsa_kernel
	.text
.Lfunc_end0:
	.size	fft_rtc_back_len198_factors_11_2_9_wgs_110_tpt_22_dp_op_CI_CI_unitstride_sbrr_R2C_dirReg, .Lfunc_end0-fft_rtc_back_len198_factors_11_2_9_wgs_110_tpt_22_dp_op_CI_CI_unitstride_sbrr_R2C_dirReg
                                        ; -- End function
	.section	.AMDGPU.csdata,"",@progbits
; Kernel info:
; codeLenInByte = 8616
; NumSgprs: 42
; NumVgprs: 225
; ScratchSize: 0
; MemoryBound: 0
; FloatMode: 240
; IeeeMode: 1
; LDSByteSize: 0 bytes/workgroup (compile time only)
; SGPRBlocks: 5
; VGPRBlocks: 56
; NumSGPRsForWavesPerEU: 42
; NumVGPRsForWavesPerEU: 225
; Occupancy: 1
; WaveLimiterHint : 1
; COMPUTE_PGM_RSRC2:SCRATCH_EN: 0
; COMPUTE_PGM_RSRC2:USER_SGPR: 6
; COMPUTE_PGM_RSRC2:TRAP_HANDLER: 0
; COMPUTE_PGM_RSRC2:TGID_X_EN: 1
; COMPUTE_PGM_RSRC2:TGID_Y_EN: 0
; COMPUTE_PGM_RSRC2:TGID_Z_EN: 0
; COMPUTE_PGM_RSRC2:TIDIG_COMP_CNT: 0
	.type	__hip_cuid_216b0f32fc9a20c8,@object ; @__hip_cuid_216b0f32fc9a20c8
	.section	.bss,"aw",@nobits
	.globl	__hip_cuid_216b0f32fc9a20c8
__hip_cuid_216b0f32fc9a20c8:
	.byte	0                               ; 0x0
	.size	__hip_cuid_216b0f32fc9a20c8, 1

	.ident	"AMD clang version 19.0.0git (https://github.com/RadeonOpenCompute/llvm-project roc-6.4.0 25133 c7fe45cf4b819c5991fe208aaa96edf142730f1d)"
	.section	".note.GNU-stack","",@progbits
	.addrsig
	.addrsig_sym __hip_cuid_216b0f32fc9a20c8
	.amdgpu_metadata
---
amdhsa.kernels:
  - .args:
      - .actual_access:  read_only
        .address_space:  global
        .offset:         0
        .size:           8
        .value_kind:     global_buffer
      - .offset:         8
        .size:           8
        .value_kind:     by_value
      - .actual_access:  read_only
        .address_space:  global
        .offset:         16
        .size:           8
        .value_kind:     global_buffer
      - .actual_access:  read_only
        .address_space:  global
        .offset:         24
        .size:           8
        .value_kind:     global_buffer
      - .actual_access:  read_only
        .address_space:  global
        .offset:         32
        .size:           8
        .value_kind:     global_buffer
      - .offset:         40
        .size:           8
        .value_kind:     by_value
      - .actual_access:  read_only
        .address_space:  global
        .offset:         48
        .size:           8
        .value_kind:     global_buffer
      - .actual_access:  read_only
        .address_space:  global
        .offset:         56
        .size:           8
        .value_kind:     global_buffer
      - .offset:         64
        .size:           4
        .value_kind:     by_value
      - .actual_access:  read_only
        .address_space:  global
        .offset:         72
        .size:           8
        .value_kind:     global_buffer
      - .actual_access:  read_only
        .address_space:  global
        .offset:         80
        .size:           8
        .value_kind:     global_buffer
      - .actual_access:  read_only
        .address_space:  global
        .offset:         88
        .size:           8
        .value_kind:     global_buffer
      - .actual_access:  write_only
        .address_space:  global
        .offset:         96
        .size:           8
        .value_kind:     global_buffer
    .group_segment_fixed_size: 0
    .kernarg_segment_align: 8
    .kernarg_segment_size: 104
    .language:       OpenCL C
    .language_version:
      - 2
      - 0
    .max_flat_workgroup_size: 110
    .name:           fft_rtc_back_len198_factors_11_2_9_wgs_110_tpt_22_dp_op_CI_CI_unitstride_sbrr_R2C_dirReg
    .private_segment_fixed_size: 0
    .sgpr_count:     42
    .sgpr_spill_count: 0
    .symbol:         fft_rtc_back_len198_factors_11_2_9_wgs_110_tpt_22_dp_op_CI_CI_unitstride_sbrr_R2C_dirReg.kd
    .uniform_work_group_size: 1
    .uses_dynamic_stack: false
    .vgpr_count:     225
    .vgpr_spill_count: 0
    .wavefront_size: 64
amdhsa.target:   amdgcn-amd-amdhsa--gfx906
amdhsa.version:
  - 1
  - 2
...

	.end_amdgpu_metadata
